;; amdgpu-corpus repo=ROCm/rocFFT kind=compiled arch=gfx1030 opt=O3
	.text
	.amdgcn_target "amdgcn-amd-amdhsa--gfx1030"
	.amdhsa_code_object_version 6
	.protected	fft_rtc_back_len891_factors_9_11_3_3_wgs_198_tpt_99_halfLds_half_ip_CI_sbrr_dirReg ; -- Begin function fft_rtc_back_len891_factors_9_11_3_3_wgs_198_tpt_99_halfLds_half_ip_CI_sbrr_dirReg
	.globl	fft_rtc_back_len891_factors_9_11_3_3_wgs_198_tpt_99_halfLds_half_ip_CI_sbrr_dirReg
	.p2align	8
	.type	fft_rtc_back_len891_factors_9_11_3_3_wgs_198_tpt_99_halfLds_half_ip_CI_sbrr_dirReg,@function
fft_rtc_back_len891_factors_9_11_3_3_wgs_198_tpt_99_halfLds_half_ip_CI_sbrr_dirReg: ; @fft_rtc_back_len891_factors_9_11_3_3_wgs_198_tpt_99_halfLds_half_ip_CI_sbrr_dirReg
; %bb.0:
	s_clause 0x2
	s_load_dwordx2 s[14:15], s[4:5], 0x18
	s_load_dwordx4 s[8:11], s[4:5], 0x0
	s_load_dwordx2 s[12:13], s[4:5], 0x50
	v_mul_u32_u24_e32 v1, 0x296, v0
	v_mov_b32_e32 v3, 0
	v_lshrrev_b32_e32 v15, 16, v1
	v_mov_b32_e32 v1, 0
	v_mov_b32_e32 v6, v3
	v_mov_b32_e32 v2, 0
	v_lshl_add_u32 v5, s6, 1, v15
	s_waitcnt lgkmcnt(0)
	s_load_dwordx2 s[2:3], s[14:15], 0x0
	v_cmp_lt_u64_e64 s0, s[10:11], 2
	s_and_b32 vcc_lo, exec_lo, s0
	s_cbranch_vccnz .LBB0_8
; %bb.1:
	s_load_dwordx2 s[0:1], s[4:5], 0x10
	v_mov_b32_e32 v1, 0
	s_add_u32 s6, s14, 8
	v_mov_b32_e32 v2, 0
	s_addc_u32 s7, s15, 0
	s_mov_b64 s[18:19], 1
	s_waitcnt lgkmcnt(0)
	s_add_u32 s16, s0, 8
	s_addc_u32 s17, s1, 0
.LBB0_2:                                ; =>This Inner Loop Header: Depth=1
	s_load_dwordx2 s[20:21], s[16:17], 0x0
                                        ; implicit-def: $vgpr7_vgpr8
	s_mov_b32 s0, exec_lo
	s_waitcnt lgkmcnt(0)
	v_or_b32_e32 v4, s21, v6
	v_cmpx_ne_u64_e32 0, v[3:4]
	s_xor_b32 s1, exec_lo, s0
	s_cbranch_execz .LBB0_4
; %bb.3:                                ;   in Loop: Header=BB0_2 Depth=1
	v_cvt_f32_u32_e32 v4, s20
	v_cvt_f32_u32_e32 v7, s21
	s_sub_u32 s0, 0, s20
	s_subb_u32 s22, 0, s21
	v_fmac_f32_e32 v4, 0x4f800000, v7
	v_rcp_f32_e32 v4, v4
	v_mul_f32_e32 v4, 0x5f7ffffc, v4
	v_mul_f32_e32 v7, 0x2f800000, v4
	v_trunc_f32_e32 v7, v7
	v_fmac_f32_e32 v4, 0xcf800000, v7
	v_cvt_u32_f32_e32 v7, v7
	v_cvt_u32_f32_e32 v4, v4
	v_mul_lo_u32 v8, s0, v7
	v_mul_hi_u32 v9, s0, v4
	v_mul_lo_u32 v10, s22, v4
	v_add_nc_u32_e32 v8, v9, v8
	v_mul_lo_u32 v9, s0, v4
	v_add_nc_u32_e32 v8, v8, v10
	v_mul_hi_u32 v10, v4, v9
	v_mul_lo_u32 v11, v4, v8
	v_mul_hi_u32 v12, v4, v8
	v_mul_hi_u32 v13, v7, v9
	v_mul_lo_u32 v9, v7, v9
	v_mul_hi_u32 v14, v7, v8
	v_mul_lo_u32 v8, v7, v8
	v_add_co_u32 v10, vcc_lo, v10, v11
	v_add_co_ci_u32_e32 v11, vcc_lo, 0, v12, vcc_lo
	v_add_co_u32 v9, vcc_lo, v10, v9
	v_add_co_ci_u32_e32 v9, vcc_lo, v11, v13, vcc_lo
	v_add_co_ci_u32_e32 v10, vcc_lo, 0, v14, vcc_lo
	v_add_co_u32 v8, vcc_lo, v9, v8
	v_add_co_ci_u32_e32 v9, vcc_lo, 0, v10, vcc_lo
	v_add_co_u32 v4, vcc_lo, v4, v8
	v_add_co_ci_u32_e32 v7, vcc_lo, v7, v9, vcc_lo
	v_mul_hi_u32 v8, s0, v4
	v_mul_lo_u32 v10, s22, v4
	v_mul_lo_u32 v9, s0, v7
	v_add_nc_u32_e32 v8, v8, v9
	v_mul_lo_u32 v9, s0, v4
	v_add_nc_u32_e32 v8, v8, v10
	v_mul_hi_u32 v10, v4, v9
	v_mul_lo_u32 v11, v4, v8
	v_mul_hi_u32 v12, v4, v8
	v_mul_hi_u32 v13, v7, v9
	v_mul_lo_u32 v9, v7, v9
	v_mul_hi_u32 v14, v7, v8
	v_mul_lo_u32 v8, v7, v8
	v_add_co_u32 v10, vcc_lo, v10, v11
	v_add_co_ci_u32_e32 v11, vcc_lo, 0, v12, vcc_lo
	v_add_co_u32 v9, vcc_lo, v10, v9
	v_add_co_ci_u32_e32 v9, vcc_lo, v11, v13, vcc_lo
	v_add_co_ci_u32_e32 v10, vcc_lo, 0, v14, vcc_lo
	v_add_co_u32 v8, vcc_lo, v9, v8
	v_add_co_ci_u32_e32 v9, vcc_lo, 0, v10, vcc_lo
	v_add_co_u32 v4, vcc_lo, v4, v8
	v_add_co_ci_u32_e32 v11, vcc_lo, v7, v9, vcc_lo
	v_mul_hi_u32 v13, v5, v4
	v_mad_u64_u32 v[9:10], null, v6, v4, 0
	v_mad_u64_u32 v[7:8], null, v5, v11, 0
	;; [unrolled: 1-line block ×3, first 2 shown]
	v_add_co_u32 v4, vcc_lo, v13, v7
	v_add_co_ci_u32_e32 v7, vcc_lo, 0, v8, vcc_lo
	v_add_co_u32 v4, vcc_lo, v4, v9
	v_add_co_ci_u32_e32 v4, vcc_lo, v7, v10, vcc_lo
	v_add_co_ci_u32_e32 v7, vcc_lo, 0, v12, vcc_lo
	v_add_co_u32 v4, vcc_lo, v4, v11
	v_add_co_ci_u32_e32 v9, vcc_lo, 0, v7, vcc_lo
	v_mul_lo_u32 v10, s21, v4
	v_mad_u64_u32 v[7:8], null, s20, v4, 0
	v_mul_lo_u32 v11, s20, v9
	v_sub_co_u32 v7, vcc_lo, v5, v7
	v_add3_u32 v8, v8, v11, v10
	v_sub_nc_u32_e32 v10, v6, v8
	v_subrev_co_ci_u32_e64 v10, s0, s21, v10, vcc_lo
	v_add_co_u32 v11, s0, v4, 2
	v_add_co_ci_u32_e64 v12, s0, 0, v9, s0
	v_sub_co_u32 v13, s0, v7, s20
	v_sub_co_ci_u32_e32 v8, vcc_lo, v6, v8, vcc_lo
	v_subrev_co_ci_u32_e64 v10, s0, 0, v10, s0
	v_cmp_le_u32_e32 vcc_lo, s20, v13
	v_cmp_eq_u32_e64 s0, s21, v8
	v_cndmask_b32_e64 v13, 0, -1, vcc_lo
	v_cmp_le_u32_e32 vcc_lo, s21, v10
	v_cndmask_b32_e64 v14, 0, -1, vcc_lo
	v_cmp_le_u32_e32 vcc_lo, s20, v7
	;; [unrolled: 2-line block ×3, first 2 shown]
	v_cndmask_b32_e64 v16, 0, -1, vcc_lo
	v_cmp_eq_u32_e32 vcc_lo, s21, v10
	v_cndmask_b32_e64 v7, v16, v7, s0
	v_cndmask_b32_e32 v10, v14, v13, vcc_lo
	v_add_co_u32 v13, vcc_lo, v4, 1
	v_add_co_ci_u32_e32 v14, vcc_lo, 0, v9, vcc_lo
	v_cmp_ne_u32_e32 vcc_lo, 0, v10
	v_cndmask_b32_e32 v8, v14, v12, vcc_lo
	v_cndmask_b32_e32 v10, v13, v11, vcc_lo
	v_cmp_ne_u32_e32 vcc_lo, 0, v7
	v_cndmask_b32_e32 v8, v9, v8, vcc_lo
	v_cndmask_b32_e32 v7, v4, v10, vcc_lo
.LBB0_4:                                ;   in Loop: Header=BB0_2 Depth=1
	s_andn2_saveexec_b32 s0, s1
	s_cbranch_execz .LBB0_6
; %bb.5:                                ;   in Loop: Header=BB0_2 Depth=1
	v_cvt_f32_u32_e32 v4, s20
	s_sub_i32 s1, 0, s20
	v_rcp_iflag_f32_e32 v4, v4
	v_mul_f32_e32 v4, 0x4f7ffffe, v4
	v_cvt_u32_f32_e32 v4, v4
	v_mul_lo_u32 v7, s1, v4
	v_mul_hi_u32 v7, v4, v7
	v_add_nc_u32_e32 v4, v4, v7
	v_mul_hi_u32 v4, v5, v4
	v_mul_lo_u32 v7, v4, s20
	v_add_nc_u32_e32 v8, 1, v4
	v_sub_nc_u32_e32 v7, v5, v7
	v_subrev_nc_u32_e32 v9, s20, v7
	v_cmp_le_u32_e32 vcc_lo, s20, v7
	v_cndmask_b32_e32 v7, v7, v9, vcc_lo
	v_cndmask_b32_e32 v4, v4, v8, vcc_lo
	v_cmp_le_u32_e32 vcc_lo, s20, v7
	v_add_nc_u32_e32 v8, 1, v4
	v_cndmask_b32_e32 v7, v4, v8, vcc_lo
	v_mov_b32_e32 v8, v3
.LBB0_6:                                ;   in Loop: Header=BB0_2 Depth=1
	s_or_b32 exec_lo, exec_lo, s0
	s_load_dwordx2 s[0:1], s[6:7], 0x0
	v_mul_lo_u32 v4, v8, s20
	v_mul_lo_u32 v11, v7, s21
	v_mad_u64_u32 v[9:10], null, v7, s20, 0
	s_add_u32 s18, s18, 1
	s_addc_u32 s19, s19, 0
	s_add_u32 s6, s6, 8
	s_addc_u32 s7, s7, 0
	s_add_u32 s16, s16, 8
	s_addc_u32 s17, s17, 0
	v_add3_u32 v4, v10, v11, v4
	v_sub_co_u32 v5, vcc_lo, v5, v9
	v_sub_co_ci_u32_e32 v4, vcc_lo, v6, v4, vcc_lo
	s_waitcnt lgkmcnt(0)
	v_mul_lo_u32 v6, s1, v5
	v_mul_lo_u32 v4, s0, v4
	v_mad_u64_u32 v[1:2], null, s0, v5, v[1:2]
	v_cmp_ge_u64_e64 s0, s[18:19], s[10:11]
	s_and_b32 vcc_lo, exec_lo, s0
	v_add3_u32 v2, v6, v2, v4
	s_cbranch_vccnz .LBB0_9
; %bb.7:                                ;   in Loop: Header=BB0_2 Depth=1
	v_mov_b32_e32 v5, v7
	v_mov_b32_e32 v6, v8
	s_branch .LBB0_2
.LBB0_8:
	v_mov_b32_e32 v8, v6
	v_mov_b32_e32 v7, v5
.LBB0_9:
	s_lshl_b64 s[0:1], s[10:11], 3
	s_load_dwordx2 s[4:5], s[4:5], 0x20
	s_add_u32 s0, s14, s0
	s_addc_u32 s1, s15, s1
	v_mul_hi_u32 v3, 0x295fad5, v0
	s_load_dwordx2 s[0:1], s[0:1], 0x0
	v_mov_b32_e32 v28, 0
	v_mov_b32_e32 v18, 0
	;; [unrolled: 1-line block ×4, first 2 shown]
                                        ; implicit-def: $vgpr21
                                        ; implicit-def: $vgpr32
                                        ; implicit-def: $vgpr22
                                        ; implicit-def: $vgpr33
                                        ; implicit-def: $vgpr27
                                        ; implicit-def: $vgpr34
                                        ; implicit-def: $vgpr31
	v_mul_u32_u24_e32 v3, 0x63, v3
	v_sub_nc_u32_e32 v6, v0, v3
                                        ; implicit-def: $vgpr3
	s_waitcnt lgkmcnt(0)
	v_cmp_gt_u64_e32 vcc_lo, s[4:5], v[7:8]
	v_add_nc_u32_e32 v9, 0x63, v6
	v_add_nc_u32_e32 v10, 0xc6, v6
	;; [unrolled: 1-line block ×3, first 2 shown]
	v_mul_lo_u32 v4, s0, v8
	v_mul_lo_u32 v5, s1, v7
	v_mad_u64_u32 v[1:2], null, s0, v7, v[1:2]
	v_add_nc_u32_e32 v11, 0x18c, v6
	v_add_nc_u32_e32 v14, 0x252, v6
	;; [unrolled: 1-line block ×3, first 2 shown]
	v_add3_u32 v2, v5, v2, v4
                                        ; implicit-def: $vgpr5
	v_lshlrev_b64 v[0:1], 2, v[1:2]
                                        ; implicit-def: $vgpr2
	s_and_saveexec_b32 s1, vcc_lo
	s_cbranch_execz .LBB0_11
; %bb.10:
	v_mad_u64_u32 v[2:3], null, s2, v6, 0
	v_mad_u64_u32 v[4:5], null, s2, v9, 0
	;; [unrolled: 1-line block ×4, first 2 shown]
	v_add_co_u32 v31, s0, s12, v0
	v_mad_u64_u32 v[18:19], null, s3, v6, v[3:4]
	v_mov_b32_e32 v3, v8
	v_mad_u64_u32 v[19:20], null, s3, v9, v[5:6]
	v_mov_b32_e32 v8, v17
	v_add_co_ci_u32_e64 v33, s0, s13, v1, s0
	v_mad_u64_u32 v[20:21], null, s3, v10, v[3:4]
	v_mov_b32_e32 v3, v18
	v_mov_b32_e32 v5, v19
	v_mad_u64_u32 v[17:18], null, s3, v13, v[8:9]
	v_add_nc_u32_e32 v28, 0x1ef, v6
	v_lshlrev_b64 v[2:3], 2, v[2:3]
	v_mad_u64_u32 v[18:19], null, s2, v11, 0
	v_lshlrev_b64 v[4:5], 2, v[4:5]
	v_mov_b32_e32 v8, v20
	v_mad_u64_u32 v[20:21], null, s2, v28, 0
	v_add_co_u32 v2, s0, v31, v2
	v_add_co_ci_u32_e64 v3, s0, v33, v3, s0
	v_mad_u64_u32 v[22:23], null, s2, v14, 0
	v_add_co_u32 v4, s0, v31, v4
	global_load_dword v2, v[2:3], off
	v_mov_b32_e32 v3, v19
	v_mov_b32_e32 v19, v21
	v_mad_u64_u32 v[24:25], null, s2, v12, 0
	v_add_nc_u32_e32 v32, 0x318, v6
	v_mad_u64_u32 v[26:27], null, s3, v11, v[3:4]
	v_mov_b32_e32 v3, v23
	v_mad_u64_u32 v[27:28], null, s3, v28, v[19:20]
	v_lshlrev_b64 v[7:8], 2, v[7:8]
	v_lshlrev_b64 v[16:17], 2, v[16:17]
	v_mad_u64_u32 v[28:29], null, s3, v14, v[3:4]
	v_mad_u64_u32 v[29:30], null, s2, v32, 0
	v_mov_b32_e32 v3, v25
	v_mov_b32_e32 v19, v26
	;; [unrolled: 1-line block ×3, first 2 shown]
	v_add_co_ci_u32_e64 v5, s0, v33, v5, s0
	v_mad_u64_u32 v[25:26], null, s3, v12, v[3:4]
	v_mov_b32_e32 v3, v30
	v_mov_b32_e32 v23, v28
	v_add_co_u32 v7, s0, v31, v7
	v_lshlrev_b64 v[20:21], 2, v[20:21]
	v_mad_u64_u32 v[26:27], null, s3, v32, v[3:4]
	v_add_co_ci_u32_e64 v8, s0, v33, v8, s0
	v_add_co_u32 v16, s0, v31, v16
	v_lshlrev_b64 v[22:23], 2, v[22:23]
	v_add_co_ci_u32_e64 v17, s0, v33, v17, s0
	v_mov_b32_e32 v30, v26
	v_add_co_u32 v20, s0, v31, v20
	v_lshlrev_b64 v[24:25], 2, v[24:25]
	v_add_co_ci_u32_e64 v21, s0, v33, v21, s0
	v_add_co_u32 v22, s0, v31, v22
	v_lshlrev_b64 v[26:27], 2, v[29:30]
	v_add_co_ci_u32_e64 v23, s0, v33, v23, s0
	v_lshlrev_b64 v[18:19], 2, v[18:19]
	v_add_co_u32 v24, s0, v31, v24
	v_add_co_ci_u32_e64 v25, s0, v33, v25, s0
	v_add_co_u32 v28, s0, v31, v26
	v_add_co_ci_u32_e64 v29, s0, v33, v27, s0
	v_add_co_u32 v32, s0, v31, v18
	v_add_co_ci_u32_e64 v33, s0, v33, v19, s0
	s_clause 0x7
	global_load_dword v21, v[20:21], off
	global_load_dword v22, v[22:23], off
	;; [unrolled: 1-line block ×8, first 2 shown]
	s_waitcnt vmcnt(8)
	v_lshrrev_b32_e32 v3, 16, v2
	s_waitcnt vmcnt(7)
	v_lshrrev_b32_e32 v5, 16, v21
	;; [unrolled: 2-line block ×5, first 2 shown]
.LBB0_11:
	s_or_b32 exec_lo, exec_lo, s1
	s_waitcnt vmcnt(3)
	v_add_f16_e32 v16, v31, v28
	s_waitcnt vmcnt(2)
	v_add_f16_e32 v19, v27, v18
	s_waitcnt vmcnt(1)
	v_add_f16_e32 v20, v22, v26
	v_sub_f16_sdwa v7, v18, v33 dst_sel:DWORD dst_unused:UNUSED_PAD src0_sel:WORD_1 src1_sel:DWORD
	v_and_b32_e32 v4, 1, v15
	v_sub_f16_sdwa v23, v28, v34 dst_sel:DWORD dst_unused:UNUSED_PAD src0_sel:WORD_1 src1_sel:DWORD
	v_add_f16_e32 v29, v16, v19
	s_waitcnt vmcnt(0)
	v_sub_f16_sdwa v24, v17, v5 dst_sel:DWORD dst_unused:UNUSED_PAD src0_sel:WORD_1 src1_sel:DWORD
	v_mul_f16_e32 v25, 0x3be1, v7
	v_add_f16_e32 v35, v21, v17
	v_cmp_eq_u32_e64 s0, 1, v4
	v_add_f16_e32 v8, v29, v20
	v_sub_f16_sdwa v15, v26, v32 dst_sel:DWORD dst_unused:UNUSED_PAD src0_sel:WORD_1 src1_sel:DWORD
	v_fmac_f16_e32 v25, 0x3924, v23
	v_mul_f16_e32 v30, 0xb924, v24
	v_fmamk_f16 v36, v16, 0x3a21, v2
	v_add_f16_e32 v8, v8, v17
	v_fmamk_f16 v37, v35, 0x3a21, v2
	v_mul_f16_e32 v38, 0x3be1, v24
	v_fmac_f16_e32 v25, 0x3aee, v15
	v_fmac_f16_e32 v30, 0x3be1, v23
	v_add_f16_e32 v4, v21, v8
	v_add_f16_e32 v8, v2, v20
	v_fmac_f16_e32 v37, 0x318f, v16
	v_fma_f16 v38, v7, 0xb924, -v38
	v_fmac_f16_e32 v25, 0x3579, v24
	v_add_f16_e32 v4, v2, v4
	v_fmac_f16_e32 v2, 0x3a21, v19
	v_fmac_f16_e32 v36, 0x318f, v19
	;; [unrolled: 1-line block ×3, first 2 shown]
	v_fmac_f16_e32 v37, -0.5, v20
	v_add_f16_e32 v24, v23, v24
	v_fmac_f16_e32 v2, 0x318f, v35
	v_add_f16_e32 v29, v29, v35
	v_fmac_f16_e32 v38, 0x3aee, v15
	v_fmac_f16_e32 v36, -0.5, v20
	v_fmac_f16_e32 v30, 0x3579, v7
	v_fmac_f16_e32 v2, -0.5, v20
	v_fmac_f16_e32 v37, 0xbb84, v19
	v_sub_f16_e32 v7, v24, v7
	v_fmac_f16_e32 v8, -0.5, v29
	v_fmac_f16_e32 v38, 0x3579, v23
	v_fmac_f16_e32 v2, 0xbb84, v16
	v_sub_f16_e32 v15, v37, v30
	v_mul_f16_e32 v19, 0x3aee, v7
	v_fmac_f16_e32 v8, 0xbaee, v7
	v_fmac_f16_e32 v36, 0xbb84, v35
	v_sub_f16_e32 v16, v2, v38
	v_cndmask_b32_e64 v42, 0, 0x37b, s0
	v_mad_u32_u24 v35, v6, 18, 0
	v_fma_f16 v23, 2.0, v30, v15
	v_fma_f16 v20, 2.0, v19, v8
	v_sub_f16_e32 v24, v36, v25
	v_fma_f16 v19, 2.0, v38, v16
	v_lshl_add_u32 v37, v42, 1, v35
	v_pack_b32_f16 v39, v15, v8
	v_pack_b32_f16 v41, v20, v23
	;; [unrolled: 1-line block ×4, first 2 shown]
	v_fma_f16 v25, 2.0, v25, v24
	v_cmp_gt_u32_e64 s0, 0x51, v6
	v_lshlrev_b32_e32 v7, 1, v42
	v_lshlrev_b32_e32 v2, 1, v6
	;; [unrolled: 1-line block ×3, first 2 shown]
	ds_write_b128 v37, v[38:41]
	ds_write_b16 v37, v25 offset:16
	s_waitcnt lgkmcnt(0)
	s_barrier
	buffer_gl0_inv
                                        ; implicit-def: $vgpr29
                                        ; implicit-def: $vgpr30
	s_and_saveexec_b32 s1, s0
	s_cbranch_execz .LBB0_13
; %bb.12:
	v_sub_nc_u32_e32 v4, v35, v36
	v_add3_u32 v8, 0, v7, v2
	v_add_nc_u32_e32 v29, v4, v7
	ds_read_u16 v4, v8
	ds_read_u16 v24, v29 offset:162
	ds_read_u16 v15, v29 offset:324
	;; [unrolled: 1-line block ×10, first 2 shown]
.LBB0_13:
	s_or_b32 exec_lo, exec_lo, s1
	v_add_f16_sdwa v34, v34, v28 dst_sel:DWORD dst_unused:UNUSED_PAD src0_sel:DWORD src1_sel:WORD_1
	v_add_f16_sdwa v33, v33, v18 dst_sel:DWORD dst_unused:UNUSED_PAD src0_sel:DWORD src1_sel:WORD_1
	;; [unrolled: 1-line block ×3, first 2 shown]
	v_sub_f16_e32 v28, v28, v31
	v_sub_f16_e32 v22, v26, v22
	;; [unrolled: 1-line block ×3, first 2 shown]
	v_add_f16_e32 v31, v34, v33
	v_sub_f16_e32 v21, v17, v21
	v_add_f16_sdwa v27, v5, v17 dst_sel:DWORD dst_unused:UNUSED_PAD src0_sel:DWORD src1_sel:WORD_1
	v_fmamk_f16 v39, v34, 0x3a21, v3
	v_mul_f16_e32 v38, 0x3be1, v18
	v_add_f16_e32 v26, v31, v32
	v_mul_f16_e32 v40, 0xb924, v21
	v_fmamk_f16 v41, v27, 0x3a21, v3
	v_mul_f16_e32 v43, 0x3be1, v21
	v_fmac_f16_e32 v38, 0x3924, v28
	v_add_f16_sdwa v17, v26, v17 dst_sel:DWORD dst_unused:UNUSED_PAD src0_sel:DWORD src1_sel:WORD_1
	v_add_f16_e32 v26, v3, v32
	v_fmac_f16_e32 v40, 0x3be1, v28
	v_fmac_f16_e32 v41, 0x318f, v34
	v_fma_f16 v43, v18, 0xb924, -v43
	v_add_f16_e32 v5, v5, v17
	v_fmac_f16_e32 v39, 0x318f, v33
	v_add_f16_e32 v42, v28, v21
	v_add_f16_e32 v31, v31, v27
	v_fmac_f16_e32 v40, 0xbaee, v22
	v_add_f16_e32 v5, v3, v5
	v_fmac_f16_e32 v3, 0x3a21, v33
	v_fmac_f16_e32 v41, -0.5, v32
	v_fmac_f16_e32 v43, 0x3aee, v22
	v_fmac_f16_e32 v38, 0x3aee, v22
	v_fmac_f16_e32 v39, -0.5, v32
	v_fmac_f16_e32 v3, 0x318f, v27
	v_sub_f16_e32 v17, v42, v18
	v_fmac_f16_e32 v26, -0.5, v31
	v_fmac_f16_e32 v40, 0x3579, v18
	v_fmac_f16_e32 v41, 0xbb84, v33
	v_fmac_f16_e32 v3, -0.5, v32
	v_fmac_f16_e32 v43, 0x3579, v28
	v_fmac_f16_e32 v38, 0x3579, v21
	;; [unrolled: 1-line block ×3, first 2 shown]
	v_mul_f16_e32 v18, 0x3aee, v17
	v_fmac_f16_e32 v3, 0xbb84, v34
	v_fmac_f16_e32 v26, 0x3aee, v17
	v_add_f16_e32 v34, v40, v41
	v_add_f16_e32 v42, v38, v39
	s_waitcnt lgkmcnt(0)
	v_add_f16_e32 v33, v43, v3
	v_fma_f16 v32, -2.0, v18, v26
	v_fma_f16 v27, -2.0, v40, v34
	;; [unrolled: 1-line block ×3, first 2 shown]
	v_pack_b32_f16 v44, v34, v26
	v_fma_f16 v39, -2.0, v43, v33
	v_pack_b32_f16 v43, v5, v42
	v_pack_b32_f16 v46, v32, v27
	s_barrier
	buffer_gl0_inv
	v_pack_b32_f16 v45, v33, v39
                                        ; implicit-def: $vgpr47
	ds_write_b16 v37, v38 offset:16
	ds_write_b128 v37, v[43:46]
	s_waitcnt lgkmcnt(0)
	s_barrier
	buffer_gl0_inv
                                        ; implicit-def: $vgpr46
	s_and_saveexec_b32 s1, s0
	s_cbranch_execz .LBB0_15
; %bb.14:
	v_sub_nc_u32_e32 v3, v35, v36
	v_add3_u32 v5, 0, v7, v2
	v_add_nc_u32_e32 v3, v3, v7
	ds_read_u16 v5, v5
	ds_read_u16 v42, v3 offset:162
	ds_read_u16 v34, v3 offset:324
	;; [unrolled: 1-line block ×10, first 2 shown]
.LBB0_15:
	s_or_b32 exec_lo, exec_lo, s1
	v_and_b32_e32 v3, 0xff, v6
	v_mov_b32_e32 v17, 10
	v_mul_lo_u16 v3, v3, 57
	v_lshrrev_b16 v56, 9, v3
	v_mul_lo_u16 v3, v56, 9
	v_sub_nc_u16 v3, v6, v3
	v_mul_u32_u24_sdwa v17, v3, v17 dst_sel:DWORD dst_unused:UNUSED_PAD src0_sel:BYTE_0 src1_sel:DWORD
	v_lshlrev_b32_e32 v17, 2, v17
	s_clause 0x2
	global_load_dwordx4 v[48:51], v17, s[8:9]
	global_load_dwordx4 v[52:55], v17, s[8:9] offset:16
	global_load_dwordx2 v[35:36], v17, s[8:9] offset:32
	s_waitcnt vmcnt(0) lgkmcnt(0)
	s_barrier
	buffer_gl0_inv
	v_mul_f16_sdwa v43, v42, v48 dst_sel:DWORD dst_unused:UNUSED_PAD src0_sel:DWORD src1_sel:WORD_1
	v_mul_f16_sdwa v37, v24, v48 dst_sel:DWORD dst_unused:UNUSED_PAD src0_sel:DWORD src1_sel:WORD_1
	;; [unrolled: 1-line block ×20, first 2 shown]
	v_fmac_f16_e32 v43, v24, v48
	v_fma_f16 v45, v42, v48, -v37
	v_fmac_f16_e32 v40, v15, v49
	v_fma_f16 v42, v34, v49, -v57
	;; [unrolled: 2-line block ×10, first 2 shown]
	v_and_b32_e32 v16, 0xffff, v56
	s_and_saveexec_b32 s1, s0
	s_cbranch_execz .LBB0_17
; %bb.16:
	v_sub_f16_e32 v23, v45, v38
	v_add_f16_e32 v15, v43, v44
	v_sub_f16_e32 v25, v42, v39
	v_add_f16_e32 v24, v40, v41
	v_sub_f16_e32 v30, v34, v37
	v_mul_f16_e32 v46, 0xb482, v23
	v_add_f16_e32 v29, v28, v31
	v_mul_f16_e32 v47, 0x3853, v25
	v_sub_f16_e32 v33, v26, v27
	v_mul_f16_e32 v48, 0xba0c, v30
	v_fma_f16 v51, v15, 0xbbad, -v46
	v_add_f16_e32 v32, v21, v22
	v_fma_f16 v54, v24, 0x3abb, -v47
	v_sub_f16_e32 v36, v19, v20
	v_mul_f16_e32 v49, 0x3b47, v33
	v_add_f16_e32 v51, v4, v51
	v_fma_f16 v55, v29, 0xb93d, -v48
	v_fmac_f16_e32 v46, 0xbbad, v15
	v_add_f16_e32 v35, v17, v18
	v_mul_f16_e32 v50, 0xbbeb, v36
	v_add_f16_e32 v51, v54, v51
	v_mul_f16_e32 v52, 0xba0c, v23
	v_fma_f16 v56, v32, 0x36a6, -v49
	v_fmac_f16_e32 v47, 0x3abb, v24
	v_add_f16_e32 v46, v4, v46
	v_add_f16_e32 v51, v55, v51
	v_mul_f16_e32 v53, 0x3beb, v25
	v_fma_f16 v54, v35, 0xb08e, -v50
	v_fmac_f16_e32 v48, 0xb93d, v29
	v_fma_f16 v55, v15, 0xb93d, -v52
	v_add_f16_e32 v46, v47, v46
	v_add_f16_e32 v47, v56, v51
	v_fmac_f16_e32 v49, 0x36a6, v32
	v_fmac_f16_e32 v50, 0xb08e, v35
	v_add_f16_e32 v51, v4, v55
	v_add_f16_e32 v46, v48, v46
	;; [unrolled: 1-line block ×3, first 2 shown]
	v_fma_f16 v48, v24, 0xb08e, -v53
	v_mul_f16_e32 v54, 0xb853, v30
	v_fmac_f16_e32 v52, 0xb93d, v15
	v_add_f16_e32 v46, v49, v46
	v_fmac_f16_e32 v53, 0xb08e, v24
	v_add_f16_e32 v48, v48, v51
	v_fma_f16 v49, v29, 0x3abb, -v54
	v_mul_f16_e32 v51, 0xb482, v33
	v_add_f16_e32 v46, v50, v46
	v_add_f16_e32 v50, v4, v52
	v_mul_f16_e32 v52, 0xbbeb, v23
	v_add_f16_e32 v48, v49, v48
	v_fma_f16 v49, v32, 0xbbad, -v51
	v_fmac_f16_e32 v54, 0x3abb, v29
	v_add_f16_e32 v50, v53, v50
	v_mul_f16_e32 v53, 0x3482, v25
	v_add_f16_e32 v8, v4, v43
	v_add_f16_e32 v48, v49, v48
	v_fma_f16 v49, v15, 0xb08e, -v52
	v_mul_f16_e32 v55, 0x3b47, v36
	v_add_f16_e32 v50, v54, v50
	v_fmac_f16_e32 v51, 0xbbad, v32
	v_fma_f16 v54, v24, 0xbbad, -v53
	v_add_f16_e32 v49, v4, v49
	v_mul_f16_e32 v57, 0x3b47, v30
	v_add_f16_e32 v8, v8, v40
	v_fma_f16 v56, v35, 0x36a6, -v55
	v_add_f16_e32 v50, v51, v50
	v_fmac_f16_e32 v52, 0xb08e, v15
	v_add_f16_e32 v49, v54, v49
	v_fma_f16 v51, v29, 0x36a6, -v57
	v_mul_f16_e32 v54, 0xb853, v33
	v_add_f16_e32 v8, v8, v28
	v_add_f16_e32 v48, v56, v48
	;; [unrolled: 1-line block ×3, first 2 shown]
	v_fmac_f16_e32 v53, 0xbbad, v24
	v_add_f16_e32 v49, v51, v49
	v_fma_f16 v51, v32, 0x3abb, -v54
	v_mul_f16_e32 v56, 0xbb47, v23
	v_add_f16_e32 v8, v8, v21
	v_add_f16_e32 v52, v53, v52
	v_fmac_f16_e32 v57, 0x36a6, v29
	v_add_f16_e32 v49, v51, v49
	v_fma_f16 v51, v15, 0x36a6, -v56
	v_mul_f16_e32 v53, 0xba0c, v25
	v_fmac_f16_e32 v56, 0x36a6, v15
	v_mul_f16_e32 v23, 0xb853, v23
	v_add_f16_e32 v8, v8, v17
	v_add_f16_e32 v52, v57, v52
	v_fma_f16 v57, v24, 0xb93d, -v53
	v_add_f16_e32 v56, v4, v56
	v_fmac_f16_e32 v53, 0xb93d, v24
	v_mul_f16_e32 v25, 0xbb47, v25
	v_fma_f16 v60, v15, 0x3abb, -v23
	v_fmac_f16_e32 v23, 0x3abb, v15
	v_fmac_f16_e32 v55, 0x36a6, v35
	v_add_f16_e32 v8, v8, v18
	v_mul_f16_e32 v58, 0x3482, v30
	v_add_f16_e32 v15, v53, v56
	v_fma_f16 v53, v24, 0x36a6, -v25
	v_mul_f16_e32 v30, 0xbbeb, v30
	v_add_f16_e32 v23, v4, v23
	v_fmac_f16_e32 v25, 0x36a6, v24
	v_add_f16_e32 v51, v4, v51
	v_add_f16_e32 v50, v55, v50
	v_mul_f16_e32 v55, 0xba0c, v36
	v_fmac_f16_e32 v54, 0x3abb, v32
	v_add_f16_e32 v8, v8, v22
	v_add_f16_e32 v4, v4, v60
	v_fma_f16 v24, v29, 0xb08e, -v30
	v_add_f16_e32 v23, v25, v23
	v_fmac_f16_e32 v30, 0xb08e, v29
	v_add_f16_e32 v51, v57, v51
	v_mul_f16_e32 v57, 0x3beb, v33
	v_mul_f16_e32 v33, 0xba0c, v33
	v_fma_f16 v59, v35, 0xb93d, -v55
	v_add_f16_e32 v52, v54, v52
	v_fmac_f16_e32 v55, 0xb93d, v35
	v_fma_f16 v54, v29, 0xbbad, -v58
	v_fmac_f16_e32 v58, 0xbbad, v29
	v_add_f16_e32 v8, v8, v31
	v_add_f16_e32 v4, v53, v4
	v_add_f16_e32 v23, v30, v23
	v_mov_b32_e32 v30, 1
	v_fma_f16 v25, v32, 0xb93d, -v33
	v_mul_f16_e32 v29, 0xb482, v36
	v_fmac_f16_e32 v33, 0xb93d, v32
	v_add_f16_e32 v52, v55, v52
	v_add_f16_e32 v51, v54, v51
	v_mul_f16_e32 v54, 0x3853, v36
	v_fma_f16 v55, v32, 0xb08e, -v57
	v_add_f16_e32 v15, v58, v15
	v_fmac_f16_e32 v57, 0xb08e, v32
	v_add_f16_e32 v8, v8, v41
	v_add_f16_e32 v4, v24, v4
	v_mad_u32_u24 v32, 0xc6, v16, 0
	v_lshlrev_b32_sdwa v30, v30, v3 dst_sel:DWORD dst_unused:UNUSED_PAD src0_sel:DWORD src1_sel:BYTE_0
	v_fma_f16 v24, v35, 0xbbad, -v29
	v_add_f16_e32 v23, v33, v23
	v_fmac_f16_e32 v29, 0xbbad, v35
	v_add_f16_e32 v49, v59, v49
	v_fma_f16 v59, v35, 0x3abb, -v54
	v_add_f16_e32 v15, v57, v15
	v_fmac_f16_e32 v54, 0x3abb, v35
	v_add_f16_e32 v8, v8, v44
	v_add_f16_e32 v33, v55, v51
	;; [unrolled: 1-line block ×3, first 2 shown]
	v_add3_u32 v25, v32, v30, v7
	v_add_f16_e32 v23, v29, v23
	v_add_f16_e32 v15, v54, v15
	;; [unrolled: 1-line block ×4, first 2 shown]
	ds_write_b16 v25, v8
	ds_write_b16 v25, v23 offset:18
	ds_write_b16 v25, v15 offset:36
	;; [unrolled: 1-line block ×10, first 2 shown]
.LBB0_17:
	s_or_b32 exec_lo, exec_lo, s1
	v_add3_u32 v8, 0, v7, v2
	v_add3_u32 v15, 0, v2, v7
	s_waitcnt lgkmcnt(0)
	s_barrier
	buffer_gl0_inv
	ds_read_u16 v24, v8
	ds_read_u16 v23, v15 offset:198
	ds_read_u16 v33, v15 offset:792
	;; [unrolled: 1-line block ×8, first 2 shown]
	s_waitcnt lgkmcnt(0)
	s_barrier
	buffer_gl0_inv
	s_and_saveexec_b32 s1, s0
	s_cbranch_execz .LBB0_19
; %bb.18:
	v_add_f16_e32 v4, v5, v45
	v_add_f16_e32 v45, v45, v38
	v_sub_f16_e32 v43, v43, v44
	v_add_f16_e32 v44, v42, v39
	v_sub_f16_e32 v40, v40, v41
	v_add_f16_e32 v4, v4, v42
	v_mul_f16_e32 v41, 0x3abb, v45
	v_mul_f16_e32 v42, 0x36a6, v45
	;; [unrolled: 1-line block ×4, first 2 shown]
	v_add_f16_e32 v4, v4, v34
	v_mul_f16_e32 v45, 0xbbad, v45
	v_mul_f16_e32 v48, 0x36a6, v44
	v_fmamk_f16 v51, v43, 0x3853, v41
	v_fmac_f16_e32 v41, 0xb853, v43
	v_add_f16_e32 v4, v4, v26
	v_mul_f16_e32 v49, 0xb93d, v44
	v_fmamk_f16 v52, v43, 0x3b47, v42
	v_fmac_f16_e32 v42, 0xbb47, v43
	v_fmamk_f16 v53, v43, 0x3beb, v46
	v_add_f16_e32 v4, v4, v19
	v_fmac_f16_e32 v46, 0xbbeb, v43
	v_fmamk_f16 v54, v43, 0x3a0c, v47
	v_fmac_f16_e32 v47, 0xba0c, v43
	v_fmamk_f16 v55, v43, 0x3482, v45
	v_add_f16_e32 v4, v4, v20
	v_fmac_f16_e32 v45, 0xb482, v43
	v_fmamk_f16 v43, v40, 0x3b47, v48
	v_fmac_f16_e32 v48, 0xbb47, v40
	v_add_f16_e32 v41, v5, v41
	v_add_f16_e32 v4, v4, v27
	v_mul_f16_e32 v50, 0xbbad, v44
	v_fmamk_f16 v56, v40, 0x3a0c, v49
	v_add_f16_e32 v42, v5, v42
	v_fmac_f16_e32 v49, 0xba0c, v40
	v_add_f16_e32 v4, v4, v37
	v_add_f16_e32 v34, v34, v37
	;; [unrolled: 1-line block ×3, first 2 shown]
	v_sub_f16_e32 v28, v28, v31
	v_add_f16_e32 v42, v49, v42
	v_add_f16_e32 v4, v4, v39
	;; [unrolled: 1-line block ×4, first 2 shown]
	v_mul_f16_e32 v31, 0xb08e, v34
	v_add_f16_e32 v52, v5, v52
	v_add_f16_e32 v4, v4, v38
	;; [unrolled: 1-line block ×3, first 2 shown]
	v_mul_f16_e32 v48, 0xb08e, v44
	v_mul_f16_e32 v44, 0x3abb, v44
	v_add_f16_e32 v53, v5, v53
	v_add_f16_e32 v46, v5, v46
	;; [unrolled: 1-line block ×3, first 2 shown]
	v_fmamk_f16 v37, v40, 0xbbeb, v48
	v_fmac_f16_e32 v48, 0x3beb, v40
	v_fmamk_f16 v49, v40, 0xb853, v44
	v_add_f16_e32 v5, v5, v45
	v_add_f16_e32 v43, v43, v51
	v_fmamk_f16 v41, v40, 0xb482, v50
	v_fmac_f16_e32 v50, 0x3482, v40
	v_fmac_f16_e32 v44, 0x3853, v40
	v_add_f16_e32 v39, v48, v39
	v_add_f16_e32 v40, v49, v47
	v_fmamk_f16 v47, v28, 0x3beb, v31
	v_mul_f16_e32 v48, 0xbbad, v34
	v_add_f16_e32 v45, v56, v52
	v_add_f16_e32 v5, v44, v5
	v_fmac_f16_e32 v31, 0xbbeb, v28
	v_mul_f16_e32 v44, 0x36a6, v34
	v_add_f16_e32 v43, v47, v43
	v_fmamk_f16 v47, v28, 0xb482, v48
	v_add_f16_e32 v41, v41, v53
	v_add_f16_e32 v46, v50, v46
	;; [unrolled: 1-line block ×3, first 2 shown]
	v_fmamk_f16 v38, v28, 0xbb47, v44
	v_fmac_f16_e32 v44, 0x3b47, v28
	v_add_f16_e32 v45, v47, v45
	v_mul_f16_e32 v47, 0x3abb, v34
	v_add_f16_e32 v26, v26, v27
	v_mul_f16_e32 v27, 0xb93d, v34
	v_add_f16_e32 v37, v37, v54
	v_add_f16_e32 v38, v38, v41
	;; [unrolled: 1-line block ×3, first 2 shown]
	v_fmamk_f16 v34, v28, 0x3853, v47
	v_fmac_f16_e32 v47, 0xb853, v28
	v_sub_f16_e32 v21, v21, v22
	v_mul_f16_e32 v22, 0xb93d, v26
	v_fmamk_f16 v44, v28, 0x3a0c, v27
	v_fmac_f16_e32 v48, 0x3482, v28
	v_add_f16_e32 v34, v34, v37
	v_add_f16_e32 v37, v47, v39
	v_fmac_f16_e32 v27, 0xba0c, v28
	v_fmamk_f16 v28, v21, 0x3a0c, v22
	v_add_f16_e32 v39, v44, v40
	v_mul_f16_e32 v40, 0xb08e, v26
	v_fmac_f16_e32 v22, 0xba0c, v21
	v_add_f16_e32 v42, v48, v42
	v_add_f16_e32 v5, v27, v5
	;; [unrolled: 1-line block ×3, first 2 shown]
	v_fmamk_f16 v43, v21, 0xbbeb, v40
	v_add_f16_e32 v22, v22, v31
	v_fmac_f16_e32 v40, 0x3beb, v21
	v_mul_f16_e32 v31, 0xbbad, v26
	v_mul_f16_e32 v28, 0x3abb, v26
	v_mul_f16_e32 v26, 0x36a6, v26
	v_add_f16_e32 v19, v19, v20
	v_add_f16_e32 v40, v40, v42
	v_fmamk_f16 v42, v21, 0x3482, v31
	v_fmac_f16_e32 v31, 0xb482, v21
	v_sub_f16_e32 v17, v17, v18
	v_mul_f16_e32 v18, 0xbbad, v19
	v_fmamk_f16 v44, v21, 0x3853, v28
	v_add_f16_e32 v20, v42, v34
	v_fmamk_f16 v34, v21, 0xbb47, v26
	v_fmac_f16_e32 v26, 0x3b47, v21
	v_fmac_f16_e32 v28, 0xb853, v21
	v_add_f16_e32 v21, v31, v37
	v_fmamk_f16 v37, v17, 0x3482, v18
	v_add_f16_e32 v31, v34, v39
	v_add_f16_e32 v5, v26, v5
	v_mul_f16_e32 v26, 0xb93d, v19
	v_mul_f16_e32 v34, 0x3abb, v19
	v_add_f16_e32 v38, v44, v38
	v_add_f16_e32 v27, v37, v27
	;; [unrolled: 1-line block ×3, first 2 shown]
	v_fmamk_f16 v37, v17, 0x3a0c, v26
	v_fmac_f16_e32 v18, 0xb482, v17
	v_fmamk_f16 v39, v17, 0xb853, v34
	v_add_f16_e32 v28, v28, v41
	v_fmac_f16_e32 v26, 0xba0c, v17
	v_add_f16_e32 v37, v37, v38
	v_mov_b32_e32 v38, 1
	v_add_f16_e32 v18, v18, v22
	v_add_f16_e32 v22, v39, v43
	v_mul_f16_e32 v39, 0x36a6, v19
	v_mul_f16_e32 v19, 0xb08e, v19
	v_mad_u32_u24 v16, 0xc6, v16, 0
	v_lshlrev_b32_sdwa v3, v38, v3 dst_sel:DWORD dst_unused:UNUSED_PAD src0_sel:DWORD src1_sel:BYTE_0
	v_add_f16_e32 v26, v26, v28
	v_fmamk_f16 v28, v17, 0xbb47, v39
	v_fmac_f16_e32 v34, 0x3853, v17
	v_fmac_f16_e32 v39, 0x3b47, v17
	v_fmamk_f16 v38, v17, 0x3beb, v19
	v_fmac_f16_e32 v19, 0xbbeb, v17
	v_add3_u32 v3, v16, v3, v7
	v_add_f16_e32 v16, v28, v20
	v_add_f16_e32 v34, v34, v40
	;; [unrolled: 1-line block ×5, first 2 shown]
	ds_write_b16 v3, v4
	ds_write_b16 v3, v27 offset:18
	ds_write_b16 v3, v22 offset:36
	;; [unrolled: 1-line block ×10, first 2 shown]
.LBB0_19:
	s_or_b32 exec_lo, exec_lo, s1
	v_mov_b32_e32 v3, 0
	v_mov_b32_e32 v18, 3
	s_waitcnt lgkmcnt(0)
	s_barrier
	buffer_gl0_inv
	v_lshlrev_b64 v[4:5], 2, v[2:3]
	v_mov_b32_e32 v2, 0xa57f
	v_mov_b32_e32 v27, 1
	v_mul_u32_u24_sdwa v2, v10, v2 dst_sel:DWORD dst_unused:UNUSED_PAD src0_sel:WORD_0 src1_sel:DWORD
	v_add_co_u32 v4, s0, s8, v4
	v_add_co_ci_u32_e64 v5, s0, s9, v5, s0
	v_lshrrev_b32_e32 v2, 22, v2
	global_load_dwordx2 v[16:17], v[4:5], off offset:360
	v_mul_lo_u16 v2, 0x63, v2
	v_sub_nc_u16 v2, v10, v2
	v_lshlrev_b32_sdwa v18, v18, v2 dst_sel:DWORD dst_unused:UNUSED_PAD src0_sel:DWORD src1_sel:WORD_0
	v_lshlrev_b32_sdwa v2, v27, v2 dst_sel:DWORD dst_unused:UNUSED_PAD src0_sel:DWORD src1_sel:WORD_0
	global_load_dwordx2 v[18:19], v18, s[8:9] offset:360
	ds_read_u16 v20, v15 offset:594
	ds_read_u16 v21, v15 offset:1188
	ds_read_u16 v22, v15 offset:792
	ds_read_u16 v26, v15 offset:1386
	ds_read_u16 v28, v8
	ds_read_u16 v31, v15 offset:198
	ds_read_u16 v34, v15 offset:990
	;; [unrolled: 1-line block ×4, first 2 shown]
	v_add3_u32 v2, 0, v2, v7
	s_waitcnt vmcnt(0) lgkmcnt(0)
	s_barrier
	buffer_gl0_inv
	v_mul_f16_sdwa v7, v20, v16 dst_sel:DWORD dst_unused:UNUSED_PAD src0_sel:DWORD src1_sel:WORD_1
	v_mul_f16_sdwa v39, v21, v17 dst_sel:DWORD dst_unused:UNUSED_PAD src0_sel:DWORD src1_sel:WORD_1
	;; [unrolled: 1-line block ×8, first 2 shown]
	v_fmac_f16_e32 v7, v36, v16
	v_fmac_f16_e32 v39, v35, v17
	v_fma_f16 v20, v20, v16, -v38
	v_fma_f16 v21, v21, v17, -v40
	v_fmac_f16_e32 v41, v33, v16
	v_fma_f16 v16, v22, v16, -v42
	v_fmac_f16_e32 v43, v32, v17
	v_fma_f16 v17, v26, v17, -v44
	v_add_f16_e32 v26, v7, v39
	v_mul_f16_sdwa v42, v34, v18 dst_sel:DWORD dst_unused:UNUSED_PAD src0_sel:DWORD src1_sel:WORD_1
	v_mul_f16_sdwa v45, v27, v19 dst_sel:DWORD dst_unused:UNUSED_PAD src0_sel:DWORD src1_sel:WORD_1
	v_add_f16_e32 v22, v24, v7
	v_sub_f16_e32 v38, v16, v17
	v_add_f16_e32 v40, v31, v16
	v_add_f16_e32 v16, v16, v17
	v_mul_f16_sdwa v44, v29, v18 dst_sel:DWORD dst_unused:UNUSED_PAD src0_sel:DWORD src1_sel:WORD_1
	v_mul_f16_sdwa v46, v30, v19 dst_sel:DWORD dst_unused:UNUSED_PAD src0_sel:DWORD src1_sel:WORD_1
	v_fmac_f16_e32 v42, v29, v18
	v_fmac_f16_e32 v45, v30, v19
	v_sub_f16_e32 v32, v20, v21
	v_add_f16_e32 v33, v28, v20
	v_add_f16_e32 v20, v20, v21
	v_add_f16_e32 v35, v23, v41
	v_add_f16_e32 v36, v41, v43
	v_fmac_f16_e32 v24, -0.5, v26
	v_add_f16_e32 v22, v22, v39
	v_fmac_f16_e32 v31, -0.5, v16
	v_fma_f16 v16, v34, v18, -v44
	v_fma_f16 v27, v27, v19, -v46
	v_add_f16_e32 v19, v42, v45
	v_sub_f16_e32 v7, v7, v39
	v_fmac_f16_e32 v28, -0.5, v20
	v_add_f16_e32 v20, v35, v43
	v_fmac_f16_e32 v23, -0.5, v36
	v_add_f16_e32 v26, v33, v21
	v_add_f16_e32 v33, v40, v17
	v_fmamk_f16 v17, v32, 0xbaee, v24
	v_add_f16_e32 v18, v25, v42
	v_fmac_f16_e32 v24, 0x3aee, v32
	ds_write_b16 v15, v22
	ds_write_b16 v15, v20 offset:594
	v_sub_f16_e32 v20, v16, v27
	v_fmac_f16_e32 v25, -0.5, v19
	v_fmamk_f16 v29, v7, 0x3aee, v28
	v_fmac_f16_e32 v28, 0xbaee, v7
	v_fmamk_f16 v7, v38, 0xbaee, v23
	v_fmac_f16_e32 v23, 0x3aee, v38
	v_add_f16_e32 v32, v37, v16
	v_add_f16_e32 v16, v16, v27
	ds_write_b16 v15, v17 offset:198
	ds_write_b16 v15, v24 offset:396
	;; [unrolled: 1-line block ×3, first 2 shown]
	v_add_f16_e32 v7, v18, v45
	v_fmamk_f16 v17, v20, 0xbaee, v25
	v_fmac_f16_e32 v25, 0x3aee, v20
	ds_write_b16 v15, v23 offset:990
	v_fmac_f16_e32 v37, -0.5, v16
	ds_write_b16 v2, v7 offset:1188
	ds_write_b16 v2, v17 offset:1386
	;; [unrolled: 1-line block ×3, first 2 shown]
	s_waitcnt lgkmcnt(0)
	s_barrier
	buffer_gl0_inv
	ds_read_u16 v7, v8
	ds_read_u16 v16, v15 offset:198
	ds_read_u16 v19, v15 offset:792
	ds_read_u16 v20, v15 offset:1386
	ds_read_u16 v17, v15 offset:1188
	ds_read_u16 v22, v15 offset:990
	ds_read_u16 v21, v15 offset:594
	ds_read_u16 v18, v15 offset:396
	ds_read_u16 v23, v15 offset:1584
	v_sub_f16_e32 v41, v41, v43
	v_sub_f16_e32 v34, v42, v45
	v_add_f16_e32 v24, v32, v27
	s_waitcnt lgkmcnt(0)
	s_barrier
	v_fmamk_f16 v30, v41, 0x3aee, v31
	v_fmac_f16_e32 v31, 0xbaee, v41
	v_fmamk_f16 v25, v34, 0x3aee, v37
	v_fmac_f16_e32 v37, 0xbaee, v34
	buffer_gl0_inv
	ds_write_b16 v15, v26
	ds_write_b16 v15, v29 offset:198
	ds_write_b16 v15, v28 offset:396
	;; [unrolled: 1-line block ×8, first 2 shown]
	s_waitcnt lgkmcnt(0)
	s_barrier
	buffer_gl0_inv
	s_and_saveexec_b32 s0, vcc_lo
	s_cbranch_execz .LBB0_21
; %bb.20:
	v_lshlrev_b32_e32 v2, 1, v10
	v_mad_u64_u32 v[26:27], null, s2, v6, 0
	v_mad_u64_u32 v[28:29], null, s2, v13, 0
	v_lshlrev_b64 v[24:25], 2, v[2:3]
	v_lshlrev_b32_e32 v2, 1, v9
	v_mad_u64_u32 v[30:31], null, s2, v14, 0
	v_mad_u64_u32 v[32:33], null, s2, v9, 0
	v_lshlrev_b64 v[2:3], 2, v[2:3]
	v_add_co_u32 v24, vcc_lo, s8, v24
	v_add_co_ci_u32_e32 v25, vcc_lo, s9, v25, vcc_lo
	v_mul_hi_u32 v38, 0xdca8f159, v10
	v_add_co_u32 v2, vcc_lo, s8, v2
	v_add_co_ci_u32_e32 v3, vcc_lo, s9, v3, vcc_lo
	global_load_dwordx2 v[24:25], v[24:25], off offset:1152
	v_mad_u64_u32 v[34:35], null, s2, v11, 0
	s_clause 0x1
	global_load_dwordx2 v[2:3], v[2:3], off offset:1152
	global_load_dwordx2 v[4:5], v[4:5], off offset:1152
	v_mad_u64_u32 v[36:37], null, s2, v12, 0
	v_add_co_u32 v48, vcc_lo, s12, v0
	ds_read_u16 v39, v15 offset:1584
	ds_read_u16 v40, v15 offset:1386
	;; [unrolled: 1-line block ×8, first 2 shown]
	ds_read_u16 v47, v8
	v_add_co_ci_u32_e32 v49, vcc_lo, s13, v1, vcc_lo
	v_mov_b32_e32 v0, v27
	v_mov_b32_e32 v1, v29
	;; [unrolled: 1-line block ×4, first 2 shown]
	v_lshrrev_b32_e32 v31, 8, v38
	v_mov_b32_e32 v27, v35
	v_mov_b32_e32 v29, v37
	v_mad_u64_u32 v[37:38], null, s3, v6, v[0:1]
	s_waitcnt vmcnt(1)
	v_mad_u64_u32 v[0:1], null, s3, v13, v[1:2]
	v_mad_u64_u32 v[13:14], null, s3, v14, v[8:9]
	;; [unrolled: 1-line block ×3, first 2 shown]
	v_mad_u32_u24 v15, 0x252, v31, v10
	v_mad_u64_u32 v[9:10], null, s3, v11, v[27:28]
	v_mad_u64_u32 v[10:11], null, s3, v12, v[29:30]
	;; [unrolled: 1-line block ×3, first 2 shown]
	v_add_nc_u32_e32 v50, 0x252, v15
	v_add_nc_u32_e32 v38, 0x129, v15
	v_mov_b32_e32 v27, v37
	v_mov_b32_e32 v29, v0
	;; [unrolled: 1-line block ×4, first 2 shown]
	v_mad_u64_u32 v[8:9], null, s2, v50, 0
	v_mov_b32_e32 v31, v13
	v_mov_b32_e32 v37, v10
	v_mad_u64_u32 v[0:1], null, s2, v38, 0
	v_lshlrev_b64 v[13:14], 2, v[26:27]
	v_mov_b32_e32 v6, v12
	v_lshlrev_b64 v[26:27], 2, v[28:29]
	v_lshlrev_b64 v[28:29], 2, v[30:31]
	;; [unrolled: 1-line block ×5, first 2 shown]
	v_mad_u64_u32 v[36:37], null, s3, v15, v[6:7]
	v_mov_b32_e32 v6, v9
	v_add_co_u32 v13, vcc_lo, v48, v13
	v_add_co_ci_u32_e32 v14, vcc_lo, v49, v14, vcc_lo
	v_mad_u64_u32 v[9:10], null, s3, v38, v[1:2]
	v_add_co_u32 v26, vcc_lo, v48, v26
	v_add_co_ci_u32_e32 v27, vcc_lo, v49, v27, vcc_lo
	v_mad_u64_u32 v[37:38], null, s3, v50, v[6:7]
	v_add_co_u32 v28, vcc_lo, v48, v28
	v_mov_b32_e32 v12, v36
	v_add_co_ci_u32_e32 v29, vcc_lo, v49, v29, vcc_lo
	v_add_co_u32 v30, vcc_lo, v48, v30
	v_mov_b32_e32 v1, v9
	v_add_co_ci_u32_e32 v31, vcc_lo, v49, v31, vcc_lo
	v_add_co_u32 v32, vcc_lo, v48, v32
	v_lshlrev_b64 v[10:11], 2, v[11:12]
	v_mov_b32_e32 v9, v37
	v_add_co_ci_u32_e32 v33, vcc_lo, v49, v33, vcc_lo
	v_add_co_u32 v34, vcc_lo, v48, v34
	v_lshlrev_b64 v[0:1], 2, v[0:1]
	v_mul_f16_sdwa v6, v22, v24 dst_sel:DWORD dst_unused:UNUSED_PAD src0_sel:DWORD src1_sel:WORD_1
	v_mul_f16_sdwa v12, v23, v25 dst_sel:DWORD dst_unused:UNUSED_PAD src0_sel:DWORD src1_sel:WORD_1
	s_waitcnt lgkmcnt(5)
	v_mul_f16_sdwa v15, v42, v24 dst_sel:DWORD dst_unused:UNUSED_PAD src0_sel:DWORD src1_sel:WORD_1
	v_mul_f16_sdwa v36, v39, v25 dst_sel:DWORD dst_unused:UNUSED_PAD src0_sel:DWORD src1_sel:WORD_1
	v_add_co_ci_u32_e32 v35, vcc_lo, v49, v35, vcc_lo
	v_lshlrev_b64 v[8:9], 2, v[8:9]
	v_add_co_u32 v10, vcc_lo, v48, v10
	v_add_co_ci_u32_e32 v11, vcc_lo, v49, v11, vcc_lo
	v_add_co_u32 v0, vcc_lo, v48, v0
	v_fma_f16 v6, v42, v24, -v6
	v_fma_f16 v12, v39, v25, -v12
	v_fmac_f16_e32 v15, v22, v24
	v_fmac_f16_e32 v36, v23, v25
	v_mul_f16_sdwa v22, v19, v2 dst_sel:DWORD dst_unused:UNUSED_PAD src0_sel:DWORD src1_sel:WORD_1
	v_mul_f16_sdwa v23, v20, v3 dst_sel:DWORD dst_unused:UNUSED_PAD src0_sel:DWORD src1_sel:WORD_1
	s_waitcnt lgkmcnt(4)
	v_mul_f16_sdwa v24, v43, v2 dst_sel:DWORD dst_unused:UNUSED_PAD src0_sel:DWORD src1_sel:WORD_1
	v_mul_f16_sdwa v25, v40, v3 dst_sel:DWORD dst_unused:UNUSED_PAD src0_sel:DWORD src1_sel:WORD_1
	s_waitcnt vmcnt(0)
	v_mul_f16_sdwa v37, v21, v4 dst_sel:DWORD dst_unused:UNUSED_PAD src0_sel:DWORD src1_sel:WORD_1
	v_mul_f16_sdwa v38, v17, v5 dst_sel:DWORD dst_unused:UNUSED_PAD src0_sel:DWORD src1_sel:WORD_1
	s_waitcnt lgkmcnt(3)
	v_mul_f16_sdwa v39, v44, v4 dst_sel:DWORD dst_unused:UNUSED_PAD src0_sel:DWORD src1_sel:WORD_1
	v_mul_f16_sdwa v42, v41, v5 dst_sel:DWORD dst_unused:UNUSED_PAD src0_sel:DWORD src1_sel:WORD_1
	v_add_co_ci_u32_e32 v1, vcc_lo, v49, v1, vcc_lo
	v_add_co_u32 v8, vcc_lo, v48, v8
	v_add_co_ci_u32_e32 v9, vcc_lo, v49, v9, vcc_lo
	v_add_f16_e32 v48, v6, v12
	v_sub_f16_e32 v49, v15, v36
	v_add_f16_e32 v50, v15, v36
	v_sub_f16_e32 v51, v6, v12
	s_waitcnt lgkmcnt(2)
	v_add_f16_e32 v6, v45, v6
	v_add_f16_e32 v15, v18, v15
	v_fma_f16 v22, v43, v2, -v22
	v_fma_f16 v23, v40, v3, -v23
	v_fmac_f16_e32 v24, v19, v2
	v_fmac_f16_e32 v25, v20, v3
	v_fma_f16 v2, v44, v4, -v37
	v_fma_f16 v3, v41, v5, -v38
	v_fmac_f16_e32 v39, v21, v4
	v_fmac_f16_e32 v42, v17, v5
	v_fma_f16 v5, -0.5, v50, v18
	v_add_f16_e32 v6, v6, v12
	v_add_f16_e32 v12, v15, v36
	;; [unrolled: 1-line block ×4, first 2 shown]
	v_sub_f16_e32 v19, v22, v23
	s_waitcnt lgkmcnt(1)
	v_add_f16_e32 v20, v46, v22
	v_add_f16_e32 v21, v16, v24
	;; [unrolled: 1-line block ×4, first 2 shown]
	v_sub_f16_e32 v37, v2, v3
	s_waitcnt lgkmcnt(0)
	v_add_f16_e32 v2, v47, v2
	v_add_f16_e32 v38, v7, v39
	v_sub_f16_e32 v17, v24, v25
	v_sub_f16_e32 v24, v39, v42
	v_fma_f16 v15, -0.5, v15, v46
	v_fma_f16 v16, -0.5, v18, v16
	v_add_f16_e32 v18, v20, v23
	v_add_f16_e32 v20, v21, v25
	v_fma_f16 v21, -0.5, v22, v47
	v_fma_f16 v7, -0.5, v36, v7
	v_add_f16_e32 v2, v2, v3
	v_add_f16_e32 v3, v38, v42
	v_fma_f16 v4, -0.5, v48, v45
	v_pack_b32_f16 v6, v12, v6
	v_fmamk_f16 v12, v17, 0xbaee, v15
	v_fmamk_f16 v22, v19, 0x3aee, v16
	v_fmac_f16_e32 v15, 0x3aee, v17
	v_fmac_f16_e32 v16, 0xbaee, v19
	v_fmamk_f16 v17, v24, 0xbaee, v21
	v_fmamk_f16 v19, v37, 0x3aee, v7
	v_fmac_f16_e32 v21, 0x3aee, v24
	v_fmac_f16_e32 v7, 0xbaee, v37
	v_pack_b32_f16 v2, v3, v2
	v_fmamk_f16 v39, v49, 0xbaee, v4
	v_fmamk_f16 v40, v51, 0x3aee, v5
	v_fmac_f16_e32 v4, 0x3aee, v49
	v_fmac_f16_e32 v5, 0xbaee, v51
	v_pack_b32_f16 v7, v7, v21
	v_pack_b32_f16 v17, v19, v17
	;; [unrolled: 1-line block ×3, first 2 shown]
	global_store_dword v[13:14], v2, off
	v_pack_b32_f16 v2, v16, v15
	v_pack_b32_f16 v12, v22, v12
	;; [unrolled: 1-line block ×4, first 2 shown]
	global_store_dword v[26:27], v7, off
	global_store_dword v[28:29], v17, off
	global_store_dword v[30:31], v3, off
	global_store_dword v[32:33], v2, off
	global_store_dword v[34:35], v12, off
	global_store_dword v[10:11], v6, off
	global_store_dword v[0:1], v4, off
	global_store_dword v[8:9], v5, off
.LBB0_21:
	s_endpgm
	.section	.rodata,"a",@progbits
	.p2align	6, 0x0
	.amdhsa_kernel fft_rtc_back_len891_factors_9_11_3_3_wgs_198_tpt_99_halfLds_half_ip_CI_sbrr_dirReg
		.amdhsa_group_segment_fixed_size 0
		.amdhsa_private_segment_fixed_size 0
		.amdhsa_kernarg_size 88
		.amdhsa_user_sgpr_count 6
		.amdhsa_user_sgpr_private_segment_buffer 1
		.amdhsa_user_sgpr_dispatch_ptr 0
		.amdhsa_user_sgpr_queue_ptr 0
		.amdhsa_user_sgpr_kernarg_segment_ptr 1
		.amdhsa_user_sgpr_dispatch_id 0
		.amdhsa_user_sgpr_flat_scratch_init 0
		.amdhsa_user_sgpr_private_segment_size 0
		.amdhsa_wavefront_size32 1
		.amdhsa_uses_dynamic_stack 0
		.amdhsa_system_sgpr_private_segment_wavefront_offset 0
		.amdhsa_system_sgpr_workgroup_id_x 1
		.amdhsa_system_sgpr_workgroup_id_y 0
		.amdhsa_system_sgpr_workgroup_id_z 0
		.amdhsa_system_sgpr_workgroup_info 0
		.amdhsa_system_vgpr_workitem_id 0
		.amdhsa_next_free_vgpr 66
		.amdhsa_next_free_sgpr 23
		.amdhsa_reserve_vcc 1
		.amdhsa_reserve_flat_scratch 0
		.amdhsa_float_round_mode_32 0
		.amdhsa_float_round_mode_16_64 0
		.amdhsa_float_denorm_mode_32 3
		.amdhsa_float_denorm_mode_16_64 3
		.amdhsa_dx10_clamp 1
		.amdhsa_ieee_mode 1
		.amdhsa_fp16_overflow 0
		.amdhsa_workgroup_processor_mode 1
		.amdhsa_memory_ordered 1
		.amdhsa_forward_progress 0
		.amdhsa_shared_vgpr_count 0
		.amdhsa_exception_fp_ieee_invalid_op 0
		.amdhsa_exception_fp_denorm_src 0
		.amdhsa_exception_fp_ieee_div_zero 0
		.amdhsa_exception_fp_ieee_overflow 0
		.amdhsa_exception_fp_ieee_underflow 0
		.amdhsa_exception_fp_ieee_inexact 0
		.amdhsa_exception_int_div_zero 0
	.end_amdhsa_kernel
	.text
.Lfunc_end0:
	.size	fft_rtc_back_len891_factors_9_11_3_3_wgs_198_tpt_99_halfLds_half_ip_CI_sbrr_dirReg, .Lfunc_end0-fft_rtc_back_len891_factors_9_11_3_3_wgs_198_tpt_99_halfLds_half_ip_CI_sbrr_dirReg
                                        ; -- End function
	.section	.AMDGPU.csdata,"",@progbits
; Kernel info:
; codeLenInByte = 7608
; NumSgprs: 25
; NumVgprs: 66
; ScratchSize: 0
; MemoryBound: 0
; FloatMode: 240
; IeeeMode: 1
; LDSByteSize: 0 bytes/workgroup (compile time only)
; SGPRBlocks: 3
; VGPRBlocks: 8
; NumSGPRsForWavesPerEU: 25
; NumVGPRsForWavesPerEU: 66
; Occupancy: 12
; WaveLimiterHint : 1
; COMPUTE_PGM_RSRC2:SCRATCH_EN: 0
; COMPUTE_PGM_RSRC2:USER_SGPR: 6
; COMPUTE_PGM_RSRC2:TRAP_HANDLER: 0
; COMPUTE_PGM_RSRC2:TGID_X_EN: 1
; COMPUTE_PGM_RSRC2:TGID_Y_EN: 0
; COMPUTE_PGM_RSRC2:TGID_Z_EN: 0
; COMPUTE_PGM_RSRC2:TIDIG_COMP_CNT: 0
	.text
	.p2alignl 6, 3214868480
	.fill 48, 4, 3214868480
	.type	__hip_cuid_6534855b25341cb,@object ; @__hip_cuid_6534855b25341cb
	.section	.bss,"aw",@nobits
	.globl	__hip_cuid_6534855b25341cb
__hip_cuid_6534855b25341cb:
	.byte	0                               ; 0x0
	.size	__hip_cuid_6534855b25341cb, 1

	.ident	"AMD clang version 19.0.0git (https://github.com/RadeonOpenCompute/llvm-project roc-6.4.0 25133 c7fe45cf4b819c5991fe208aaa96edf142730f1d)"
	.section	".note.GNU-stack","",@progbits
	.addrsig
	.addrsig_sym __hip_cuid_6534855b25341cb
	.amdgpu_metadata
---
amdhsa.kernels:
  - .args:
      - .actual_access:  read_only
        .address_space:  global
        .offset:         0
        .size:           8
        .value_kind:     global_buffer
      - .offset:         8
        .size:           8
        .value_kind:     by_value
      - .actual_access:  read_only
        .address_space:  global
        .offset:         16
        .size:           8
        .value_kind:     global_buffer
      - .actual_access:  read_only
        .address_space:  global
        .offset:         24
        .size:           8
        .value_kind:     global_buffer
      - .offset:         32
        .size:           8
        .value_kind:     by_value
      - .actual_access:  read_only
        .address_space:  global
        .offset:         40
        .size:           8
        .value_kind:     global_buffer
      - .actual_access:  read_only
        .address_space:  global
        .offset:         48
        .size:           8
        .value_kind:     global_buffer
      - .offset:         56
        .size:           4
        .value_kind:     by_value
      - .actual_access:  read_only
        .address_space:  global
        .offset:         64
        .size:           8
        .value_kind:     global_buffer
      - .actual_access:  read_only
        .address_space:  global
        .offset:         72
        .size:           8
        .value_kind:     global_buffer
      - .address_space:  global
        .offset:         80
        .size:           8
        .value_kind:     global_buffer
    .group_segment_fixed_size: 0
    .kernarg_segment_align: 8
    .kernarg_segment_size: 88
    .language:       OpenCL C
    .language_version:
      - 2
      - 0
    .max_flat_workgroup_size: 198
    .name:           fft_rtc_back_len891_factors_9_11_3_3_wgs_198_tpt_99_halfLds_half_ip_CI_sbrr_dirReg
    .private_segment_fixed_size: 0
    .sgpr_count:     25
    .sgpr_spill_count: 0
    .symbol:         fft_rtc_back_len891_factors_9_11_3_3_wgs_198_tpt_99_halfLds_half_ip_CI_sbrr_dirReg.kd
    .uniform_work_group_size: 1
    .uses_dynamic_stack: false
    .vgpr_count:     66
    .vgpr_spill_count: 0
    .wavefront_size: 32
    .workgroup_processor_mode: 1
amdhsa.target:   amdgcn-amd-amdhsa--gfx1030
amdhsa.version:
  - 1
  - 2
...

	.end_amdgpu_metadata
